;; amdgpu-corpus repo=zjin-lcf/HeCBench kind=compiled arch=gfx1250 opt=O3
	.amdgcn_target "amdgcn-amd-amdhsa--gfx1250"
	.amdhsa_code_object_version 6
	.text
	.protected	_Z9incKernelPiPKiii     ; -- Begin function _Z9incKernelPiPKiii
	.globl	_Z9incKernelPiPKiii
	.p2align	8
	.type	_Z9incKernelPiPKiii,@function
_Z9incKernelPiPKiii:                    ; @_Z9incKernelPiPKiii
; %bb.0:
	s_clause 0x1
	s_load_b32 s2, s[0:1], 0x24
	s_load_b64 s[4:5], s[0:1], 0x10
	s_bfe_u32 s3, ttmp6, 0x4000c
	s_and_b32 s6, ttmp6, 15
	s_add_co_i32 s3, s3, 1
	s_getreg_b32 s7, hwreg(HW_REG_IB_STS2, 6, 4)
	s_mul_i32 s3, ttmp9, s3
	s_delay_alu instid0(SALU_CYCLE_1)
	s_add_co_i32 s6, s6, s3
	s_wait_kmcnt 0x0
	s_and_b32 s2, s2, 0xffff
	s_cmp_eq_u32 s7, 0
	s_cselect_b32 s3, ttmp9, s6
	s_cmp_gt_i32 s5, 0
	v_mad_u32 v0, s3, s2, v0
	s_cselect_b32 s2, -1, 0
	s_delay_alu instid0(VALU_DEP_1) | instskip(SKIP_1) | instid1(SALU_CYCLE_1)
	v_cmp_gt_i32_e32 vcc_lo, s4, v0
	s_and_b32 s2, vcc_lo, s2
	s_and_saveexec_b32 s3, s2
	s_cbranch_execz .LBB0_10
; %bb.1:
	s_load_b128 s[0:3], s[0:1], 0x0
	s_cmp_eq_u32 s5, 1
	s_wait_kmcnt 0x0
	global_load_b32 v1, v0, s[2:3] scale_offset
	s_wait_loadcnt 0x0
	v_add_nc_u32_e32 v2, 1, v1
	global_store_b32 v0, v2, s[0:1] scale_offset
	s_cbranch_scc1 .LBB0_10
; %bb.2:
	v_ashrrev_i32_e32 v1, 31, v0
	s_cmp_lt_u32 s5, 5
	s_cbranch_scc1 .LBB0_6
; %bb.3:
	s_add_co_i32 s2, s5, -1
	v_mov_b32_e32 v3, 0
	s_and_b32 s3, s2, -4
	s_mov_b32 s4, 0
	s_mov_b32 s6, 0
	;; [unrolled: 1-line block ×3, first 2 shown]
.LBB0_4:                                ; =>This Inner Loop Header: Depth=1
	s_wait_xcnt 0x0
	v_dual_add_nc_u32 v3, 1, v3 :: v_dual_add_nc_u32 v2, 1, v2
	s_add_co_i32 s7, s7, -4
	s_add_co_i32 s6, s6, 1
	s_add_co_i32 s4, s4, 1
	s_cmp_lg_u32 s7, 0
	s_cbranch_scc1 .LBB0_4
; %bb.5:
	v_add_nc_u32_e32 v3, s6, v3
	s_or_b32 s6, s3, 1
	s_cmp_lg_u32 s2, s3
	s_cselect_b32 s2, -1, 0
	s_delay_alu instid0(VALU_DEP_1)
	v_add3_u32 v2, s4, v2, v3
	s_and_b32 vcc_lo, exec_lo, s2
	s_cbranch_vccnz .LBB0_7
	s_branch .LBB0_9
.LBB0_6:
	s_mov_b32 s6, 1
	s_cbranch_execz .LBB0_9
.LBB0_7:
	s_wait_xcnt 0x0
	v_add_nc_u32_e32 v2, s5, v2
	s_sub_co_i32 s2, s5, s6
	s_delay_alu instid0(VALU_DEP_1)
	v_subrev_nc_u32_e32 v2, s6, v2
.LBB0_8:                                ; =>This Inner Loop Header: Depth=1
	s_add_co_i32 s2, s2, -1
	s_delay_alu instid0(SALU_CYCLE_1)
	s_cmp_lg_u32 s2, 0
	s_cbranch_scc1 .LBB0_8
.LBB0_9:
	s_wait_xcnt 0x0
	v_lshl_add_u64 v[0:1], v[0:1], 2, s[0:1]
	global_store_b32 v[0:1], v2, off
.LBB0_10:
	s_endpgm
	.section	.rodata,"a",@progbits
	.p2align	6, 0x0
	.amdhsa_kernel _Z9incKernelPiPKiii
		.amdhsa_group_segment_fixed_size 0
		.amdhsa_private_segment_fixed_size 0
		.amdhsa_kernarg_size 280
		.amdhsa_user_sgpr_count 2
		.amdhsa_user_sgpr_dispatch_ptr 0
		.amdhsa_user_sgpr_queue_ptr 0
		.amdhsa_user_sgpr_kernarg_segment_ptr 1
		.amdhsa_user_sgpr_dispatch_id 0
		.amdhsa_user_sgpr_kernarg_preload_length 0
		.amdhsa_user_sgpr_kernarg_preload_offset 0
		.amdhsa_user_sgpr_private_segment_size 0
		.amdhsa_wavefront_size32 1
		.amdhsa_uses_dynamic_stack 0
		.amdhsa_enable_private_segment 0
		.amdhsa_system_sgpr_workgroup_id_x 1
		.amdhsa_system_sgpr_workgroup_id_y 0
		.amdhsa_system_sgpr_workgroup_id_z 0
		.amdhsa_system_sgpr_workgroup_info 0
		.amdhsa_system_vgpr_workitem_id 0
		.amdhsa_next_free_vgpr 4
		.amdhsa_next_free_sgpr 8
		.amdhsa_named_barrier_count 0
		.amdhsa_reserve_vcc 1
		.amdhsa_float_round_mode_32 0
		.amdhsa_float_round_mode_16_64 0
		.amdhsa_float_denorm_mode_32 3
		.amdhsa_float_denorm_mode_16_64 3
		.amdhsa_fp16_overflow 0
		.amdhsa_memory_ordered 1
		.amdhsa_forward_progress 1
		.amdhsa_inst_pref_size 3
		.amdhsa_round_robin_scheduling 0
		.amdhsa_exception_fp_ieee_invalid_op 0
		.amdhsa_exception_fp_denorm_src 0
		.amdhsa_exception_fp_ieee_div_zero 0
		.amdhsa_exception_fp_ieee_overflow 0
		.amdhsa_exception_fp_ieee_underflow 0
		.amdhsa_exception_fp_ieee_inexact 0
		.amdhsa_exception_int_div_zero 0
	.end_amdhsa_kernel
	.text
.Lfunc_end0:
	.size	_Z9incKernelPiPKiii, .Lfunc_end0-_Z9incKernelPiPKiii
                                        ; -- End function
	.set _Z9incKernelPiPKiii.num_vgpr, 4
	.set _Z9incKernelPiPKiii.num_agpr, 0
	.set _Z9incKernelPiPKiii.numbered_sgpr, 8
	.set _Z9incKernelPiPKiii.num_named_barrier, 0
	.set _Z9incKernelPiPKiii.private_seg_size, 0
	.set _Z9incKernelPiPKiii.uses_vcc, 1
	.set _Z9incKernelPiPKiii.uses_flat_scratch, 0
	.set _Z9incKernelPiPKiii.has_dyn_sized_stack, 0
	.set _Z9incKernelPiPKiii.has_recursion, 0
	.set _Z9incKernelPiPKiii.has_indirect_call, 0
	.section	.AMDGPU.csdata,"",@progbits
; Kernel info:
; codeLenInByte = 344
; TotalNumSgprs: 10
; NumVgprs: 4
; ScratchSize: 0
; MemoryBound: 0
; FloatMode: 240
; IeeeMode: 1
; LDSByteSize: 0 bytes/workgroup (compile time only)
; SGPRBlocks: 0
; VGPRBlocks: 0
; NumSGPRsForWavesPerEU: 10
; NumVGPRsForWavesPerEU: 4
; NamedBarCnt: 0
; Occupancy: 16
; WaveLimiterHint : 0
; COMPUTE_PGM_RSRC2:SCRATCH_EN: 0
; COMPUTE_PGM_RSRC2:USER_SGPR: 2
; COMPUTE_PGM_RSRC2:TRAP_HANDLER: 0
; COMPUTE_PGM_RSRC2:TGID_X_EN: 1
; COMPUTE_PGM_RSRC2:TGID_Y_EN: 0
; COMPUTE_PGM_RSRC2:TGID_Z_EN: 0
; COMPUTE_PGM_RSRC2:TIDIG_COMP_CNT: 0
	.text
	.p2alignl 7, 3214868480
	.fill 96, 4, 3214868480
	.section	.AMDGPU.gpr_maximums,"",@progbits
	.set amdgpu.max_num_vgpr, 0
	.set amdgpu.max_num_agpr, 0
	.set amdgpu.max_num_sgpr, 0
	.text
	.type	__hip_cuid_5eaf754cb170a84a,@object ; @__hip_cuid_5eaf754cb170a84a
	.section	.bss,"aw",@nobits
	.globl	__hip_cuid_5eaf754cb170a84a
__hip_cuid_5eaf754cb170a84a:
	.byte	0                               ; 0x0
	.size	__hip_cuid_5eaf754cb170a84a, 1

	.ident	"AMD clang version 22.0.0git (https://github.com/RadeonOpenCompute/llvm-project roc-7.2.4 26084 f58b06dce1f9c15707c5f808fd002e18c2accf7e)"
	.section	".note.GNU-stack","",@progbits
	.addrsig
	.addrsig_sym __hip_cuid_5eaf754cb170a84a
	.amdgpu_metadata
---
amdhsa.kernels:
  - .args:
      - .address_space:  global
        .offset:         0
        .size:           8
        .value_kind:     global_buffer
      - .address_space:  global
        .offset:         8
        .size:           8
        .value_kind:     global_buffer
      - .offset:         16
        .size:           4
        .value_kind:     by_value
      - .offset:         20
        .size:           4
        .value_kind:     by_value
      - .offset:         24
        .size:           4
        .value_kind:     hidden_block_count_x
      - .offset:         28
        .size:           4
        .value_kind:     hidden_block_count_y
      - .offset:         32
        .size:           4
        .value_kind:     hidden_block_count_z
      - .offset:         36
        .size:           2
        .value_kind:     hidden_group_size_x
      - .offset:         38
        .size:           2
        .value_kind:     hidden_group_size_y
      - .offset:         40
        .size:           2
        .value_kind:     hidden_group_size_z
      - .offset:         42
        .size:           2
        .value_kind:     hidden_remainder_x
      - .offset:         44
        .size:           2
        .value_kind:     hidden_remainder_y
      - .offset:         46
        .size:           2
        .value_kind:     hidden_remainder_z
      - .offset:         64
        .size:           8
        .value_kind:     hidden_global_offset_x
      - .offset:         72
        .size:           8
        .value_kind:     hidden_global_offset_y
      - .offset:         80
        .size:           8
        .value_kind:     hidden_global_offset_z
      - .offset:         88
        .size:           2
        .value_kind:     hidden_grid_dims
    .group_segment_fixed_size: 0
    .kernarg_segment_align: 8
    .kernarg_segment_size: 280
    .language:       OpenCL C
    .language_version:
      - 2
      - 0
    .max_flat_workgroup_size: 1024
    .name:           _Z9incKernelPiPKiii
    .private_segment_fixed_size: 0
    .sgpr_count:     10
    .sgpr_spill_count: 0
    .symbol:         _Z9incKernelPiPKiii.kd
    .uniform_work_group_size: 1
    .uses_dynamic_stack: false
    .vgpr_count:     4
    .vgpr_spill_count: 0
    .wavefront_size: 32
amdhsa.target:   amdgcn-amd-amdhsa--gfx1250
amdhsa.version:
  - 1
  - 2
...

	.end_amdgpu_metadata
